;; amdgpu-corpus repo=llvm/llvm-project kind=harvested arch=n/a opt=n/a
// NOTE: Assertions have been autogenerated by utils/update_mc_test_checks.py UTC_ARGS: --unique --sort --version 6
// RUN: llvm-mc -triple=amdgcn -mcpu=gfx1100 -mattr=-real-true16,+wavefrontsize32 -show-encoding %s | FileCheck --check-prefixes=GFX11 %s
// RUN: llvm-mc -triple=amdgcn -mcpu=gfx1100 -mattr=-real-true16,+wavefrontsize64 -show-encoding %s | FileCheck --check-prefixes=GFX11 %s

v_ceil_f16 v127, v127 dpp8:[0,0,0,0,0,0,0,0] fi:0
// GFX11: v_ceil_f16_dpp v127, v127 dpp8:[0,0,0,0,0,0,0,0] ; encoding: [0xe9,0xb8,0xfe,0x7e,0x7f,0x00,0x00,0x00]

v_ceil_f16 v5, v1 dpp8:[7,6,5,4,3,2,1,0]
// GFX11: v_ceil_f16_dpp v5, v1 dpp8:[7,6,5,4,3,2,1,0] ; encoding: [0xe9,0xb8,0x0a,0x7e,0x01,0x77,0x39,0x05]

v_ceil_f16 v5, v1 dpp8:[7,6,5,4,3,2,1,0] fi:1
// GFX11: v_ceil_f16_dpp v5, v1 dpp8:[7,6,5,4,3,2,1,0] fi:1 ; encoding: [0xea,0xb8,0x0a,0x7e,0x01,0x77,0x39,0x05]

v_exp_f16 v127, v127 dpp8:[0,0,0,0,0,0,0,0] fi:0
// GFX11: v_exp_f16_dpp v127, v127 dpp8:[0,0,0,0,0,0,0,0] ; encoding: [0xe9,0xb0,0xfe,0x7e,0x7f,0x00,0x00,0x00]

v_exp_f16 v5, v1 dpp8:[7,6,5,4,3,2,1,0]
// GFX11: v_exp_f16_dpp v5, v1 dpp8:[7,6,5,4,3,2,1,0] ; encoding: [0xe9,0xb0,0x0a,0x7e,0x01,0x77,0x39,0x05]

v_exp_f16 v5, v1 dpp8:[7,6,5,4,3,2,1,0] fi:1
// GFX11: v_exp_f16_dpp v5, v1 dpp8:[7,6,5,4,3,2,1,0] fi:1 ; encoding: [0xea,0xb0,0x0a,0x7e,0x01,0x77,0x39,0x05]

v_floor_f16 v127, v127 dpp8:[0,0,0,0,0,0,0,0] fi:0
// GFX11: v_floor_f16_dpp v127, v127 dpp8:[0,0,0,0,0,0,0,0] ; encoding: [0xe9,0xb6,0xfe,0x7e,0x7f,0x00,0x00,0x00]

v_floor_f16 v5, v1 dpp8:[7,6,5,4,3,2,1,0]
// GFX11: v_floor_f16_dpp v5, v1 dpp8:[7,6,5,4,3,2,1,0] ; encoding: [0xe9,0xb6,0x0a,0x7e,0x01,0x77,0x39,0x05]

v_floor_f16 v5, v1 dpp8:[7,6,5,4,3,2,1,0] fi:1
// GFX11: v_floor_f16_dpp v5, v1 dpp8:[7,6,5,4,3,2,1,0] fi:1 ; encoding: [0xea,0xb6,0x0a,0x7e,0x01,0x77,0x39,0x05]

v_log_f16 v127, v127 dpp8:[0,0,0,0,0,0,0,0] fi:0
// GFX11: v_log_f16_dpp v127, v127 dpp8:[0,0,0,0,0,0,0,0] ; encoding: [0xe9,0xae,0xfe,0x7e,0x7f,0x00,0x00,0x00]

v_log_f16 v5, v1 dpp8:[7,6,5,4,3,2,1,0]
// GFX11: v_log_f16_dpp v5, v1 dpp8:[7,6,5,4,3,2,1,0] ; encoding: [0xe9,0xae,0x0a,0x7e,0x01,0x77,0x39,0x05]

v_log_f16 v5, v1 dpp8:[7,6,5,4,3,2,1,0] fi:1
// GFX11: v_log_f16_dpp v5, v1 dpp8:[7,6,5,4,3,2,1,0] fi:1 ; encoding: [0xea,0xae,0x0a,0x7e,0x01,0x77,0x39,0x05]

v_rcp_f16 v127, v127 dpp8:[0,0,0,0,0,0,0,0] fi:0
// GFX11: v_rcp_f16_dpp v127, v127 dpp8:[0,0,0,0,0,0,0,0] ; encoding: [0xe9,0xa8,0xfe,0x7e,0x7f,0x00,0x00,0x00]

v_rcp_f16 v5, v1 dpp8:[7,6,5,4,3,2,1,0]
// GFX11: v_rcp_f16_dpp v5, v1 dpp8:[7,6,5,4,3,2,1,0] ; encoding: [0xe9,0xa8,0x0a,0x7e,0x01,0x77,0x39,0x05]

v_rcp_f16 v5, v1 dpp8:[7,6,5,4,3,2,1,0] fi:1
// GFX11: v_rcp_f16_dpp v5, v1 dpp8:[7,6,5,4,3,2,1,0] fi:1 ; encoding: [0xea,0xa8,0x0a,0x7e,0x01,0x77,0x39,0x05]

v_rsq_f16 v127, v127 dpp8:[0,0,0,0,0,0,0,0] fi:0
// GFX11: v_rsq_f16_dpp v127, v127 dpp8:[0,0,0,0,0,0,0,0] ; encoding: [0xe9,0xac,0xfe,0x7e,0x7f,0x00,0x00,0x00]

v_rsq_f16 v5, v1 dpp8:[7,6,5,4,3,2,1,0]
// GFX11: v_rsq_f16_dpp v5, v1 dpp8:[7,6,5,4,3,2,1,0] ; encoding: [0xe9,0xac,0x0a,0x7e,0x01,0x77,0x39,0x05]

v_rsq_f16 v5, v1 dpp8:[7,6,5,4,3,2,1,0] fi:1
// GFX11: v_rsq_f16_dpp v5, v1 dpp8:[7,6,5,4,3,2,1,0] fi:1 ; encoding: [0xea,0xac,0x0a,0x7e,0x01,0x77,0x39,0x05]

v_sqrt_f16 v127, v127 dpp8:[0,0,0,0,0,0,0,0] fi:0
// GFX11: v_sqrt_f16_dpp v127, v127 dpp8:[0,0,0,0,0,0,0,0] ; encoding: [0xe9,0xaa,0xfe,0x7e,0x7f,0x00,0x00,0x00]

v_sqrt_f16 v5, v1 dpp8:[7,6,5,4,3,2,1,0]
// GFX11: v_sqrt_f16_dpp v5, v1 dpp8:[7,6,5,4,3,2,1,0] ; encoding: [0xe9,0xaa,0x0a,0x7e,0x01,0x77,0x39,0x05]

v_sqrt_f16 v5, v1 dpp8:[7,6,5,4,3,2,1,0] fi:1
// GFX11: v_sqrt_f16_dpp v5, v1 dpp8:[7,6,5,4,3,2,1,0] fi:1 ; encoding: [0xea,0xaa,0x0a,0x7e,0x01,0x77,0x39,0x05]
